;; amdgpu-corpus repo=ROCm/rocFFT kind=compiled arch=gfx1201 opt=O3
	.text
	.amdgcn_target "amdgcn-amd-amdhsa--gfx1201"
	.amdhsa_code_object_version 6
	.protected	fft_rtc_fwd_len112_factors_4_7_4_wgs_448_tpt_28_dp_op_CI_CI_sbrc_xy_z_unaligned_dirReg ; -- Begin function fft_rtc_fwd_len112_factors_4_7_4_wgs_448_tpt_28_dp_op_CI_CI_sbrc_xy_z_unaligned_dirReg
	.globl	fft_rtc_fwd_len112_factors_4_7_4_wgs_448_tpt_28_dp_op_CI_CI_sbrc_xy_z_unaligned_dirReg
	.p2align	8
	.type	fft_rtc_fwd_len112_factors_4_7_4_wgs_448_tpt_28_dp_op_CI_CI_sbrc_xy_z_unaligned_dirReg,@function
fft_rtc_fwd_len112_factors_4_7_4_wgs_448_tpt_28_dp_op_CI_CI_sbrc_xy_z_unaligned_dirReg: ; @fft_rtc_fwd_len112_factors_4_7_4_wgs_448_tpt_28_dp_op_CI_CI_sbrc_xy_z_unaligned_dirReg
; %bb.0:
	s_load_b128 s[4:7], s[0:1], 0x10
	s_mov_b32 s2, ttmp9
	s_mov_b64 s[24:25], 0
	s_wait_kmcnt 0x0
	s_load_b128 s[8:11], s[4:5], 0x8
	s_clause 0x1
	s_load_b128 s[12:15], s[6:7], 0x0
	s_load_b64 s[20:21], s[6:7], 0x10
	s_wait_kmcnt 0x0
	s_add_co_i32 s3, s10, -1
	s_delay_alu instid0(SALU_CYCLE_1) | instskip(NEXT) | instid1(SALU_CYCLE_1)
	s_lshr_b32 s3, s3, 4
	s_add_co_i32 s3, s3, 1
	s_delay_alu instid0(SALU_CYCLE_1) | instskip(NEXT) | instid1(SALU_CYCLE_1)
	s_mul_i32 s4, s3, s8
	s_cvt_f32_u32 s3, s4
	s_sub_co_i32 s5, 0, s4
	s_delay_alu instid0(SALU_CYCLE_2) | instskip(NEXT) | instid1(TRANS32_DEP_1)
	v_rcp_iflag_f32_e32 v1, s3
	v_readfirstlane_b32 s3, v1
	v_cvt_f32_u32_e32 v1, s8
	s_delay_alu instid0(VALU_DEP_2) | instskip(SKIP_1) | instid1(SALU_CYCLE_2)
	s_mul_f32 s3, s3, 0x4f7ffffe
	s_wait_alu 0xfffe
	s_cvt_u32_f32 s3, s3
	s_wait_alu 0xfffe
	s_delay_alu instid0(SALU_CYCLE_2) | instskip(NEXT) | instid1(SALU_CYCLE_1)
	s_mul_i32 s5, s5, s3
	s_mul_hi_u32 s5, s3, s5
	s_delay_alu instid0(SALU_CYCLE_1)
	s_add_co_i32 s3, s3, s5
	s_wait_alu 0xfffe
	s_mul_hi_u32 s3, ttmp9, s3
	s_wait_alu 0xfffe
	s_mul_i32 s5, s3, s4
	s_add_co_i32 s11, s3, 1
	s_sub_co_i32 s5, ttmp9, s5
	s_delay_alu instid0(SALU_CYCLE_1)
	s_sub_co_i32 s15, s5, s4
	s_cmp_ge_u32 s5, s4
	s_cselect_b32 s3, s11, s3
	s_cselect_b32 s5, s15, s5
	s_wait_alu 0xfffe
	s_add_co_i32 s11, s3, 1
	s_cmp_ge_u32 s5, s4
	s_cselect_b32 s16, s11, s3
	s_mov_b32 s3, 0
	s_mul_i32 s4, s16, s4
	s_wait_alu 0xfffe
	s_mov_b32 s5, s3
	s_sub_co_i32 s4, ttmp9, s4
	s_delay_alu instid0(SALU_CYCLE_1) | instskip(NEXT) | instid1(VALU_DEP_1)
	v_cmp_lt_u64_e64 s5, s[4:5], s[8:9]
	s_and_b32 vcc_lo, exec_lo, s5
	s_cbranch_vccnz .LBB0_2
; %bb.1:
	v_rcp_iflag_f32_e32 v2, v1
	s_sub_co_i32 s11, 0, s8
	s_delay_alu instid0(TRANS32_DEP_1) | instskip(NEXT) | instid1(VALU_DEP_1)
	v_mul_f32_e32 v2, 0x4f7ffffe, v2
	v_cvt_u32_f32_e32 v2, v2
	s_delay_alu instid0(VALU_DEP_1) | instskip(NEXT) | instid1(VALU_DEP_1)
	v_readfirstlane_b32 s5, v2
	s_mul_i32 s11, s11, s5
	s_delay_alu instid0(SALU_CYCLE_1) | instskip(NEXT) | instid1(SALU_CYCLE_1)
	s_mul_hi_u32 s11, s5, s11
	s_add_co_i32 s5, s5, s11
	s_wait_alu 0xfffe
	s_mul_hi_u32 s5, s4, s5
	s_wait_alu 0xfffe
	s_mul_i32 s11, s5, s8
	s_delay_alu instid0(SALU_CYCLE_1)
	s_sub_co_i32 s4, s4, s11
	s_add_co_i32 s11, s5, 1
	s_wait_alu 0xfffe
	s_sub_co_i32 s15, s4, s8
	s_cmp_ge_u32 s4, s8
	s_cselect_b32 s5, s11, s5
	s_cselect_b32 s4, s15, s4
	s_wait_alu 0xfffe
	s_add_co_i32 s11, s5, 1
	s_cmp_ge_u32 s4, s8
	s_cselect_b32 s24, s11, s5
.LBB0_2:
	s_load_b64 s[18:19], s[0:1], 0x20
	v_cmp_lt_u64_e64 s3, s[2:3], s[8:9]
	s_delay_alu instid0(VALU_DEP_1)
	s_and_b32 vcc_lo, exec_lo, s3
	s_cbranch_vccnz .LBB0_4
; %bb.3:
	v_rcp_iflag_f32_e32 v1, v1
	s_sub_co_i32 s4, 0, s8
	s_delay_alu instid0(TRANS32_DEP_1) | instskip(NEXT) | instid1(VALU_DEP_1)
	v_mul_f32_e32 v1, 0x4f7ffffe, v1
	v_cvt_u32_f32_e32 v1, v1
	s_delay_alu instid0(VALU_DEP_1) | instskip(SKIP_1) | instid1(VALU_DEP_1)
	v_readfirstlane_b32 s3, v1
	s_wait_alu 0xfffe
	s_mul_i32 s4, s4, s3
	s_wait_alu 0xfffe
	s_mul_hi_u32 s4, s3, s4
	s_wait_alu 0xfffe
	s_add_co_i32 s3, s3, s4
	s_wait_alu 0xfffe
	s_mul_hi_u32 s3, s2, s3
	s_wait_alu 0xfffe
	s_mul_i32 s3, s3, s8
	s_wait_alu 0xfffe
	s_sub_co_i32 s2, s2, s3
	s_wait_alu 0xfffe
	s_sub_co_i32 s3, s2, s8
	s_cmp_ge_u32 s2, s8
	s_wait_alu 0xfffe
	s_cselect_b32 s2, s3, s2
	s_wait_alu 0xfffe
	s_sub_co_i32 s3, s2, s8
	s_cmp_ge_u32 s2, s8
	s_wait_alu 0xfffe
	s_cselect_b32 s2, s3, s2
.LBB0_4:
	s_load_b64 s[4:5], s[0:1], 0x8
	v_mul_u32_u24_e32 v1, 0x24a, v0
	s_mul_i32 s3, s2, s14
	s_lshl_b32 s14, s24, 4
	s_mov_b32 s25, 0
	s_mul_i32 s11, s14, s20
	v_lshrrev_b32_e32 v3, 16, v1
	s_add_co_i32 s15, s14, 16
	s_wait_alu 0xfffe
	s_add_co_i32 s24, s3, s11
	s_mov_b32 s17, s25
	v_mul_lo_u16 v1, 0x70, v3
	s_delay_alu instid0(VALU_DEP_1)
	v_sub_nc_u16 v1, v0, v1
	s_wait_kmcnt 0x0
	s_lshl_b64 s[4:5], s[4:5], 3
	s_cmp_le_u32 s15, s10
	s_wait_alu 0xfffe
	s_add_nc_u64 s[6:7], s[6:7], s[4:5]
	s_add_nc_u64 s[8:9], s[18:19], s[4:5]
	s_load_b64 s[26:27], s[6:7], 0x0
	s_load_b64 s[22:23], s[0:1], 0x58
	s_clause 0x2
	s_load_b128 s[4:7], s[18:19], 0x0
	s_load_b64 s[18:19], s[18:19], 0x10
	s_load_b64 s[8:9], s[8:9], 0x0
	v_and_b32_e32 v4, 0xffff, v1
	s_cselect_b32 s3, -1, 0
	s_wait_kmcnt 0x0
	s_mov_b32 s7, -1
	s_wait_alu 0xfffe
	s_and_b32 vcc_lo, exec_lo, s3
	s_mul_u64 s[26:27], s[26:27], s[16:17]
	s_delay_alu instid0(SALU_CYCLE_1)
	s_add_nc_u64 s[24:25], s[26:27], s[24:25]
	s_cbranch_vccnz .LBB0_9
; %bb.5:
	v_or_b32_e32 v5, s14, v3
	s_mov_b32 s7, exec_lo
	s_delay_alu instid0(VALU_DEP_1)
	v_cmpx_gt_u32_e64 s10, v5
	s_cbranch_execz .LBB0_8
; %bb.6:
	v_mad_co_u64_u32 v[1:2], null, s12, v4, 0
	s_lshl_b64 s[26:27], s[24:25], 4
	s_mov_b32 s11, 0
	s_add_nc_u64 s[26:27], s[22:23], s[26:27]
	s_lshl_b32 s15, s20, 2
	s_mov_b32 s19, 0
	s_delay_alu instid0(VALU_DEP_1) | instskip(NEXT) | instid1(VALU_DEP_1)
	v_mad_co_u64_u32 v[6:7], null, s13, v4, v[2:3]
	v_dual_mov_b32 v2, v6 :: v_dual_lshlrev_b32 v7, 4, v3
	s_delay_alu instid0(VALU_DEP_1) | instskip(NEXT) | instid1(VALU_DEP_2)
	v_lshl_or_b32 v6, v4, 8, v7
	v_lshlrev_b64_e32 v[7:8], 4, v[1:2]
	v_mul_lo_u32 v1, v3, s20
	s_delay_alu instid0(VALU_DEP_3) | instskip(SKIP_1) | instid1(VALU_DEP_4)
	v_add_nc_u32_e32 v6, 0, v6
	v_mov_b32_e32 v2, 0
	v_add_co_u32 v7, vcc_lo, s26, v7
	v_add_co_ci_u32_e32 v8, vcc_lo, s27, v8, vcc_lo
.LBB0_7:                                ; =>This Inner Loop Header: Depth=1
	s_delay_alu instid0(VALU_DEP_3) | instskip(SKIP_4) | instid1(VALU_DEP_3)
	v_lshlrev_b64_e32 v[9:10], 4, v[1:2]
	s_add_co_i32 s19, s19, 4
	s_wait_alu 0xfffe
	v_add_nc_u32_e32 v1, s15, v1
	v_add_nc_u32_e32 v13, s19, v5
	v_add_co_u32 v9, vcc_lo, v7, v9
	s_wait_alu 0xfffd
	v_add_co_ci_u32_e32 v10, vcc_lo, v8, v10, vcc_lo
	s_delay_alu instid0(VALU_DEP_3)
	v_cmp_le_u32_e32 vcc_lo, s10, v13
	global_load_b128 v[9:12], v[9:10], off
	s_or_b32 s11, vcc_lo, s11
	s_wait_loadcnt 0x0
	ds_store_b128 v6, v[9:12]
	v_add_nc_u32_e32 v6, 64, v6
	s_wait_alu 0xfffe
	s_and_not1_b32 exec_lo, exec_lo, s11
	s_cbranch_execnz .LBB0_7
.LBB0_8:
	s_or_b32 exec_lo, exec_lo, s7
	s_mov_b32 s7, 0
.LBB0_9:
	s_delay_alu instid0(SALU_CYCLE_1)
	s_and_not1_b32 vcc_lo, exec_lo, s7
	s_wait_alu 0xfffe
	s_cbranch_vccnz .LBB0_11
; %bb.10:
	v_mad_co_u64_u32 v[1:2], null, s12, v4, 0
	v_mul_lo_u32 v5, s20, v3
	s_lshl_b32 s7, s20, 2
	v_mov_b32_e32 v6, 0
	s_delay_alu instid0(VALU_DEP_3) | instskip(NEXT) | instid1(VALU_DEP_2)
	v_mad_co_u64_u32 v[7:8], null, s13, v4, v[2:3]
	v_lshlrev_b64_e32 v[8:9], 4, v[5:6]
	v_add_nc_u32_e32 v5, s7, v5
	s_lshl_b64 s[12:13], s[24:25], 4
	s_wait_alu 0xfffe
	s_add_nc_u64 s[12:13], s[22:23], s[12:13]
	s_delay_alu instid0(VALU_DEP_1) | instskip(NEXT) | instid1(VALU_DEP_4)
	v_lshlrev_b64_e32 v[10:11], 4, v[5:6]
	v_dual_mov_b32 v2, v7 :: v_dual_add_nc_u32 v5, s7, v5
	s_delay_alu instid0(VALU_DEP_1) | instskip(NEXT) | instid1(VALU_DEP_2)
	v_lshlrev_b64_e32 v[1:2], 4, v[1:2]
	v_lshlrev_b64_e32 v[12:13], 4, v[5:6]
	v_add_nc_u32_e32 v5, s7, v5
	s_wait_alu 0xfffe
	s_delay_alu instid0(VALU_DEP_3) | instskip(SKIP_3) | instid1(VALU_DEP_3)
	v_add_co_u32 v7, vcc_lo, s12, v1
	s_wait_alu 0xfffd
	v_add_co_ci_u32_e32 v16, vcc_lo, s13, v2, vcc_lo
	v_lshlrev_b64_e32 v[1:2], 4, v[5:6]
	v_add_co_u32 v5, vcc_lo, v7, v8
	s_wait_alu 0xfffd
	s_delay_alu instid0(VALU_DEP_3)
	v_add_co_ci_u32_e32 v6, vcc_lo, v16, v9, vcc_lo
	v_add_co_u32 v9, vcc_lo, v7, v10
	s_wait_alu 0xfffd
	v_add_co_ci_u32_e32 v10, vcc_lo, v16, v11, vcc_lo
	v_add_co_u32 v14, vcc_lo, v7, v12
	s_wait_alu 0xfffd
	;; [unrolled: 3-line block ×3, first 2 shown]
	v_add_co_ci_u32_e32 v2, vcc_lo, v16, v2, vcc_lo
	s_clause 0x3
	global_load_b128 v[5:8], v[5:6], off
	global_load_b128 v[9:12], v[9:10], off
	;; [unrolled: 1-line block ×4, first 2 shown]
	v_lshlrev_b32_e32 v1, 8, v4
	v_lshlrev_b32_e32 v2, 4, v3
	s_delay_alu instid0(VALU_DEP_1) | instskip(SKIP_1) | instid1(VALU_DEP_2)
	v_or_b32_e32 v3, v1, v2
	v_add3_u32 v1, 0, v1, v2
	v_add_nc_u32_e32 v3, 0, v3
	s_wait_loadcnt 0x3
	ds_store_b128 v3, v[5:8]
	s_wait_loadcnt 0x2
	ds_store_b128 v1, v[9:12] offset:64
	s_wait_loadcnt 0x1
	ds_store_b128 v1, v[13:16] offset:128
	;; [unrolled: 2-line block ×3, first 2 shown]
.LBB0_11:
	v_lshrrev_b32_e32 v31, 4, v0
	v_and_b32_e32 v29, 15, v0
	global_wb scope:SCOPE_SE
	s_wait_dscnt 0x0
	s_barrier_signal -1
	s_barrier_wait -1
	v_lshlrev_b32_e32 v1, 8, v31
	v_lshlrev_b32_e32 v32, 4, v29
	global_inv scope:SCOPE_SE
	s_load_b64 s[12:13], s[0:1], 0x0
	v_cmp_gt_u32_e32 vcc_lo, 0x100, v0
                                        ; implicit-def: $vgpr27_vgpr28
                                        ; implicit-def: $vgpr23_vgpr24
	v_add3_u32 v30, 0, v1, v32
	ds_load_b128 v[1:4], v30 offset:14336
	ds_load_b128 v[5:8], v30
	ds_load_b128 v[9:12], v30 offset:7168
	ds_load_b128 v[13:16], v30 offset:21504
	global_wb scope:SCOPE_SE
	s_wait_dscnt 0x0
	s_wait_kmcnt 0x0
	s_barrier_signal -1
	s_barrier_wait -1
	global_inv scope:SCOPE_SE
	v_add_f64_e64 v[1:2], v[5:6], -v[1:2]
	v_add_f64_e64 v[17:18], v[7:8], -v[3:4]
	;; [unrolled: 1-line block ×4, first 2 shown]
	s_delay_alu instid0(VALU_DEP_4) | instskip(NEXT) | instid1(VALU_DEP_4)
	v_fma_f64 v[19:20], v[5:6], 2.0, -v[1:2]
	v_fma_f64 v[7:8], v[7:8], 2.0, -v[17:18]
	s_delay_alu instid0(VALU_DEP_4) | instskip(NEXT) | instid1(VALU_DEP_4)
	v_fma_f64 v[5:6], v[9:10], 2.0, -v[3:4]
	v_fma_f64 v[11:12], v[11:12], 2.0, -v[13:14]
	v_add_f64_e64 v[13:14], v[1:2], -v[13:14]
	v_add_f64_e32 v[15:16], v[17:18], v[3:4]
	s_delay_alu instid0(VALU_DEP_4) | instskip(NEXT) | instid1(VALU_DEP_4)
	v_add_f64_e64 v[9:10], v[19:20], -v[5:6]
	v_add_f64_e64 v[11:12], v[7:8], -v[11:12]
	s_delay_alu instid0(VALU_DEP_4) | instskip(NEXT) | instid1(VALU_DEP_3)
	v_fma_f64 v[5:6], v[1:2], 2.0, -v[13:14]
	v_fma_f64 v[1:2], v[19:20], 2.0, -v[9:10]
	s_delay_alu instid0(VALU_DEP_3)
	v_fma_f64 v[3:4], v[7:8], 2.0, -v[11:12]
	v_fma_f64 v[7:8], v[17:18], 2.0, -v[15:16]
	v_mad_u32_u24 v17, 0x300, v31, v30
                                        ; implicit-def: $vgpr19_vgpr20
	ds_store_b128 v17, v[9:12] offset:512
	ds_store_b128 v17, v[13:16] offset:768
	ds_store_b128 v17, v[1:4]
	ds_store_b128 v17, v[5:8] offset:256
	global_wb scope:SCOPE_SE
	s_wait_dscnt 0x0
	s_barrier_signal -1
	s_barrier_wait -1
	global_inv scope:SCOPE_SE
	s_and_saveexec_b32 s7, vcc_lo
	s_cbranch_execz .LBB0_13
; %bb.12:
	v_and_b32_e32 v1, 0xf0, v0
	s_delay_alu instid0(VALU_DEP_1) | instskip(NEXT) | instid1(VALU_DEP_1)
	v_lshlrev_b32_e32 v1, 4, v1
	v_add3_u32 v25, 0, v1, v32
	ds_load_b128 v[1:4], v25
	ds_load_b128 v[5:8], v25 offset:4096
	ds_load_b128 v[9:12], v25 offset:8192
	;; [unrolled: 1-line block ×6, first 2 shown]
.LBB0_13:
	s_wait_alu 0xfffe
	s_or_b32 exec_lo, exec_lo, s7
	global_wb scope:SCOPE_SE
	s_wait_dscnt 0x0
	s_barrier_signal -1
	s_barrier_wait -1
	global_inv scope:SCOPE_SE
	s_and_saveexec_b32 s7, vcc_lo
	s_cbranch_execz .LBB0_15
; %bb.14:
	v_bfe_u32 v69, v0, 4, 2
	s_mov_b32 s20, 0xe976ee23
	s_mov_b32 s21, 0xbfe11646
	;; [unrolled: 1-line block ×4, first 2 shown]
	v_mul_u32_u24_e32 v33, 6, v69
	s_mov_b32 s24, 0x429ad128
	s_mov_b32 s25, 0x3febfeb5
	;; [unrolled: 1-line block ×4, first 2 shown]
	v_lshlrev_b32_e32 v53, 4, v33
	s_mov_b32 s26, 0xaaaaaaaa
	s_mov_b32 s27, 0xbff2aaaa
	s_clause 0x5
	global_load_b128 v[33:36], v53, s[12:13] offset:16
	global_load_b128 v[37:40], v53, s[12:13] offset:64
	global_load_b128 v[41:44], v53, s[12:13]
	global_load_b128 v[45:48], v53, s[12:13] offset:80
	global_load_b128 v[49:52], v53, s[12:13] offset:48
	;; [unrolled: 1-line block ×3, first 2 shown]
	s_wait_loadcnt 0x5
	v_mul_f64_e32 v[57:58], v[9:10], v[35:36]
	s_wait_loadcnt 0x4
	v_mul_f64_e32 v[59:60], v[21:22], v[39:40]
	;; [unrolled: 2-line block ×4, first 2 shown]
	v_mul_f64_e32 v[35:36], v[11:12], v[35:36]
	v_mul_f64_e32 v[39:40], v[23:24], v[39:40]
	;; [unrolled: 1-line block ×4, first 2 shown]
	s_wait_loadcnt 0x1
	v_mul_f64_e32 v[65:66], v[19:20], v[51:52]
	s_wait_loadcnt 0x0
	v_mul_f64_e32 v[67:68], v[15:16], v[55:56]
	v_mul_f64_e32 v[55:56], v[13:14], v[55:56]
	;; [unrolled: 1-line block ×3, first 2 shown]
	v_fma_f64 v[11:12], v[11:12], v[33:34], v[57:58]
	v_fma_f64 v[23:24], v[23:24], v[37:38], v[59:60]
	;; [unrolled: 1-line block ×4, first 2 shown]
	v_fma_f64 v[9:10], v[9:10], v[33:34], -v[35:36]
	v_fma_f64 v[21:22], v[21:22], v[37:38], -v[39:40]
	;; [unrolled: 1-line block ×6, first 2 shown]
	v_fma_f64 v[15:16], v[15:16], v[53:54], v[55:56]
	v_fma_f64 v[19:20], v[19:20], v[49:50], v[51:52]
	v_add_f64_e32 v[33:34], v[11:12], v[23:24]
	v_add_f64_e64 v[11:12], v[11:12], -v[23:24]
	v_add_f64_e32 v[35:36], v[7:8], v[27:28]
	v_add_f64_e64 v[7:8], v[7:8], -v[27:28]
	;; [unrolled: 2-line block ×4, first 2 shown]
	v_add_f64_e64 v[41:42], v[17:18], -v[13:14]
	v_add_f64_e32 v[13:14], v[13:14], v[17:18]
	v_add_f64_e32 v[21:22], v[15:16], v[19:20]
	v_add_f64_e64 v[15:16], v[19:20], -v[15:16]
	v_add_f64_e32 v[17:18], v[33:34], v[35:36]
	v_add_f64_e64 v[47:48], v[11:12], -v[7:8]
	;; [unrolled: 2-line block ×3, first 2 shown]
	v_add_f64_e64 v[23:24], v[41:42], -v[9:10]
	v_add_f64_e64 v[43:44], v[39:40], -v[13:14]
	;; [unrolled: 1-line block ×4, first 2 shown]
	v_add_f64_e32 v[9:10], v[41:42], v[9:10]
	v_add_f64_e64 v[41:42], v[5:6], -v[41:42]
	v_add_f64_e64 v[49:50], v[7:8], -v[15:16]
	v_add_f64_e32 v[11:12], v[15:16], v[11:12]
	v_add_f64_e32 v[17:18], v[21:22], v[17:18]
	v_add_f64_e64 v[21:22], v[21:22], -v[33:34]
	v_add_f64_e64 v[33:34], v[33:34], -v[35:36]
	;; [unrolled: 1-line block ×3, first 2 shown]
	v_add_f64_e32 v[19:20], v[13:14], v[19:20]
	v_add_f64_e64 v[13:14], v[13:14], -v[37:38]
	s_wait_alu 0xfffe
	v_mul_f64_e32 v[23:24], s[20:21], v[23:24]
	v_mul_f64_e32 v[37:38], s[22:23], v[43:44]
	;; [unrolled: 1-line block ×4, first 2 shown]
	s_mov_b32 s20, 0x36b3c0b5
	s_mov_b32 s21, 0x3fac98ee
	v_mul_f64_e32 v[39:40], s[24:25], v[45:46]
	v_mul_f64_e32 v[43:44], s[24:25], v[47:48]
	s_mov_b32 s23, 0x3fd5d0dc
	s_mov_b32 s22, 0xb247c609
	v_add_f64_e32 v[5:6], v[9:10], v[5:6]
	v_add_f64_e32 v[7:8], v[11:12], v[7:8]
	;; [unrolled: 1-line block ×3, first 2 shown]
	s_wait_alu 0xfffe
	v_mul_f64_e32 v[15:16], s[20:21], v[21:22]
	v_add_f64_e32 v[1:2], v[1:2], v[19:20]
	v_mul_f64_e32 v[51:52], s[20:21], v[13:14]
	v_fma_f64 v[9:10], v[41:42], s[22:23], v[23:24]
	v_fma_f64 v[55:56], v[35:36], s[28:29], -v[37:38]
	v_fma_f64 v[21:22], v[21:22], s[20:21], v[25:26]
	v_fma_f64 v[53:54], v[49:50], s[22:23], v[27:28]
	s_mov_b32 s23, 0xbfd5d0dc
	v_fma_f64 v[25:26], v[33:34], s[28:29], -v[25:26]
	s_mov_b32 s29, 0x3fe77f67
	v_fma_f64 v[23:24], v[45:46], s[24:25], -v[23:24]
	s_wait_alu 0xfffe
	v_fma_f64 v[39:40], v[41:42], s[22:23], -v[39:40]
	v_fma_f64 v[13:14], v[13:14], s[20:21], v[37:38]
	s_mov_b32 s20, 0x37c3f68c
	s_mov_b32 s21, 0x3fdc38aa
	v_fma_f64 v[17:18], v[17:18], s[26:27], v[3:4]
	v_fma_f64 v[11:12], v[33:34], s[28:29], -v[15:16]
	v_fma_f64 v[15:16], v[47:48], s[24:25], -v[27:28]
	;; [unrolled: 1-line block ×3, first 2 shown]
	v_fma_f64 v[19:20], v[19:20], s[26:27], v[1:2]
	v_fma_f64 v[33:34], v[35:36], s[28:29], -v[51:52]
	s_wait_alu 0xfffe
	v_fma_f64 v[9:10], v[5:6], s[20:21], v[9:10]
	v_fma_f64 v[35:36], v[7:8], s[20:21], v[53:54]
	v_fma_f64 v[23:24], v[5:6], s[20:21], v[23:24]
	v_fma_f64 v[5:6], v[5:6], s[20:21], v[39:40]
	v_add_f64_e32 v[21:22], v[21:22], v[17:18]
	v_add_f64_e32 v[25:26], v[25:26], v[17:18]
	;; [unrolled: 1-line block ×3, first 2 shown]
	v_fma_f64 v[39:40], v[7:8], s[20:21], v[27:28]
	v_add_f64_e32 v[41:42], v[13:14], v[19:20]
	v_add_f64_e32 v[43:44], v[55:56], v[19:20]
	v_fma_f64 v[37:38], v[7:8], s[20:21], v[15:16]
	v_add_f64_e32 v[13:14], v[33:34], v[19:20]
	v_lshrrev_b32_e32 v33, 6, v0
	s_delay_alu instid0(VALU_DEP_1) | instskip(NEXT) | instid1(VALU_DEP_1)
	v_mul_u32_u24_e32 v33, 28, v33
	v_or_b32_e32 v33, v33, v69
	s_delay_alu instid0(VALU_DEP_1) | instskip(NEXT) | instid1(VALU_DEP_1)
	v_lshlrev_b32_e32 v33, 8, v33
	v_add3_u32 v32, 0, v33, v32
	v_add_f64_e64 v[27:28], v[21:22], -v[9:10]
	v_add_f64_e32 v[11:12], v[5:6], v[25:26]
	v_add_f64_e64 v[15:16], v[17:18], -v[23:24]
	v_add_f64_e32 v[19:20], v[23:24], v[17:18]
	;; [unrolled: 2-line block ×3, first 2 shown]
	v_add_f64_e32 v[7:8], v[9:10], v[21:22]
	v_add_f64_e32 v[21:22], v[39:40], v[43:44]
	v_add_f64_e64 v[17:18], v[13:14], -v[37:38]
	v_add_f64_e32 v[13:14], v[37:38], v[13:14]
	v_add_f64_e64 v[9:10], v[43:44], -v[39:40]
	v_add_f64_e64 v[5:6], v[41:42], -v[35:36]
	ds_store_b128 v32, v[1:4]
	ds_store_b128 v32, v[25:28] offset:1024
	ds_store_b128 v32, v[21:24] offset:2048
	;; [unrolled: 1-line block ×6, first 2 shown]
.LBB0_15:
	s_wait_alu 0xfffe
	s_or_b32 exec_lo, exec_lo, s7
	v_or_b32_e32 v1, s14, v29
	global_wb scope:SCOPE_SE
	s_wait_dscnt 0x0
	s_barrier_signal -1
	s_barrier_wait -1
	global_inv scope:SCOPE_SE
	v_cmp_gt_u32_e32 vcc_lo, s10, v1
	s_or_b32 s3, s3, vcc_lo
	s_wait_alu 0xfffe
	s_and_saveexec_b32 s7, s3
	s_cbranch_execz .LBB0_17
; %bb.16:
	v_mul_hi_u32 v1, 0x924924a, v31
	s_load_b64 s[0:1], s[0:1], 0x60
	v_mul_hi_u32_u24_e32 v0, 0x924925, v0
	s_mov_b32 s3, 0
	s_mul_i32 s2, s2, s18
	s_wait_alu 0xfffe
	s_mov_b32 s15, s3
	s_lshl_b64 s[2:3], s[2:3], 4
	s_mul_u64 s[8:9], s[8:9], s[16:17]
	v_mul_u32_u24_e32 v1, 28, v1
	s_delay_alu instid0(VALU_DEP_1) | instskip(NEXT) | instid1(VALU_DEP_1)
	v_sub_nc_u32_e32 v33, v31, v1
	v_mul_u32_u24_e32 v1, 3, v33
	v_mad_u32_u24 v0, 0x70, v0, v33
	s_delay_alu instid0(VALU_DEP_2)
	v_lshlrev_b32_e32 v9, 4, v1
	s_clause 0x2
	global_load_b128 v[1:4], v9, s[12:13] offset:400
	global_load_b128 v[5:8], v9, s[12:13] offset:384
	;; [unrolled: 1-line block ×3, first 2 shown]
	ds_load_b128 v[13:16], v30 offset:14336
	ds_load_b128 v[17:20], v30 offset:7168
	ds_load_b128 v[21:24], v30 offset:21504
	s_wait_loadcnt_dscnt 0x202
	v_mul_f64_e32 v[25:26], v[13:14], v[3:4]
	s_wait_loadcnt_dscnt 0x101
	v_mul_f64_e32 v[27:28], v[19:20], v[7:8]
	v_mul_f64_e32 v[7:8], v[17:18], v[7:8]
	s_wait_loadcnt_dscnt 0x0
	v_mul_f64_e32 v[31:32], v[21:22], v[11:12]
	v_mul_f64_e32 v[3:4], v[15:16], v[3:4]
	;; [unrolled: 1-line block ×3, first 2 shown]
	v_fma_f64 v[15:16], v[15:16], v[1:2], v[25:26]
	v_fma_f64 v[17:18], v[17:18], v[5:6], -v[27:28]
	v_fma_f64 v[5:6], v[19:20], v[5:6], v[7:8]
	v_fma_f64 v[7:8], v[23:24], v[9:10], v[31:32]
	v_fma_f64 v[13:14], v[13:14], v[1:2], -v[3:4]
	v_fma_f64 v[9:10], v[21:22], v[9:10], -v[11:12]
	ds_load_b128 v[1:4], v30
	s_wait_dscnt 0x0
	v_add_f64_e64 v[11:12], v[3:4], -v[15:16]
	v_add_f64_e64 v[15:16], v[5:6], -v[7:8]
	;; [unrolled: 1-line block ×4, first 2 shown]
	s_delay_alu instid0(VALU_DEP_4) | instskip(NEXT) | instid1(VALU_DEP_4)
	v_fma_f64 v[9:10], v[3:4], 2.0, -v[11:12]
	v_fma_f64 v[5:6], v[5:6], 2.0, -v[15:16]
	s_delay_alu instid0(VALU_DEP_4) | instskip(NEXT) | instid1(VALU_DEP_4)
	v_fma_f64 v[13:14], v[1:2], 2.0, -v[19:20]
	v_fma_f64 v[1:2], v[17:18], 2.0, -v[7:8]
	v_add_f64_e32 v[3:4], v[11:12], v[7:8]
	v_mad_co_u64_u32 v[17:18], null, s4, v29, 0
	v_add_f64_e64 v[7:8], v[9:10], -v[5:6]
	s_delay_alu instid0(VALU_DEP_4) | instskip(SKIP_1) | instid1(VALU_DEP_4)
	v_add_f64_e64 v[5:6], v[13:14], -v[1:2]
	v_add_f64_e64 v[1:2], v[19:20], -v[15:16]
	v_mov_b32_e32 v15, v18
	v_fma_f64 v[11:12], v[11:12], 2.0, -v[3:4]
	s_delay_alu instid0(VALU_DEP_2)
	v_mad_co_u64_u32 v[15:16], null, s5, v29, v[15:16]
	s_wait_alu 0xfffe
	s_mul_u64 s[4:5], s[4:5], s[14:15]
	s_wait_alu 0xfffe
	s_lshl_b64 s[4:5], s[4:5], 4
	s_wait_kmcnt 0x0
	s_wait_alu 0xfffe
	s_add_nc_u64 s[0:1], s[0:1], s[4:5]
	s_lshl_b64 s[4:5], s[8:9], 4
	v_mov_b32_e32 v18, v15
	s_add_nc_u64 s[0:1], s[0:1], s[2:3]
	s_mul_i32 s2, s6, 28
	v_mov_b32_e32 v21, 0
	s_wait_alu 0xfffe
	s_add_nc_u64 s[0:1], s[0:1], s[4:5]
	v_lshlrev_b64_e32 v[17:18], 4, v[17:18]
	v_fma_f64 v[15:16], v[9:10], 2.0, -v[7:8]
	v_fma_f64 v[13:14], v[13:14], 2.0, -v[5:6]
	;; [unrolled: 1-line block ×3, first 2 shown]
	v_mul_lo_u32 v20, v0, s6
	v_add_co_u32 v0, vcc_lo, s0, v17
	s_wait_alu 0xfffd
	v_add_co_ci_u32_e32 v26, vcc_lo, s1, v18, vcc_lo
	s_delay_alu instid0(VALU_DEP_3) | instskip(SKIP_1) | instid1(VALU_DEP_1)
	v_lshlrev_b64_e32 v[22:23], 4, v[20:21]
	v_add_nc_u32_e32 v20, s2, v20
	v_lshlrev_b64_e32 v[17:18], 4, v[20:21]
	v_add_nc_u32_e32 v20, s2, v20
	s_delay_alu instid0(VALU_DEP_4) | instskip(SKIP_2) | instid1(VALU_DEP_3)
	v_add_co_u32 v22, vcc_lo, v0, v22
	s_wait_alu 0xfffd
	v_add_co_ci_u32_e32 v23, vcc_lo, v26, v23, vcc_lo
	v_lshlrev_b64_e32 v[24:25], 4, v[20:21]
	v_add_nc_u32_e32 v20, s2, v20
	v_add_co_u32 v17, vcc_lo, v0, v17
	s_wait_alu 0xfffd
	v_add_co_ci_u32_e32 v18, vcc_lo, v26, v18, vcc_lo
	s_delay_alu instid0(VALU_DEP_3) | instskip(SKIP_3) | instid1(VALU_DEP_3)
	v_lshlrev_b64_e32 v[19:20], 4, v[20:21]
	v_add_co_u32 v24, vcc_lo, v0, v24
	s_wait_alu 0xfffd
	v_add_co_ci_u32_e32 v25, vcc_lo, v26, v25, vcc_lo
	v_add_co_u32 v19, vcc_lo, v0, v19
	s_wait_alu 0xfffd
	v_add_co_ci_u32_e32 v20, vcc_lo, v26, v20, vcc_lo
	s_clause 0x3
	global_store_b128 v[22:23], v[13:16], off
	global_store_b128 v[17:18], v[9:12], off
	;; [unrolled: 1-line block ×4, first 2 shown]
.LBB0_17:
	s_nop 0
	s_sendmsg sendmsg(MSG_DEALLOC_VGPRS)
	s_endpgm
	.section	.rodata,"a",@progbits
	.p2align	6, 0x0
	.amdhsa_kernel fft_rtc_fwd_len112_factors_4_7_4_wgs_448_tpt_28_dp_op_CI_CI_sbrc_xy_z_unaligned_dirReg
		.amdhsa_group_segment_fixed_size 0
		.amdhsa_private_segment_fixed_size 0
		.amdhsa_kernarg_size 104
		.amdhsa_user_sgpr_count 2
		.amdhsa_user_sgpr_dispatch_ptr 0
		.amdhsa_user_sgpr_queue_ptr 0
		.amdhsa_user_sgpr_kernarg_segment_ptr 1
		.amdhsa_user_sgpr_dispatch_id 0
		.amdhsa_user_sgpr_private_segment_size 0
		.amdhsa_wavefront_size32 1
		.amdhsa_uses_dynamic_stack 0
		.amdhsa_enable_private_segment 0
		.amdhsa_system_sgpr_workgroup_id_x 1
		.amdhsa_system_sgpr_workgroup_id_y 0
		.amdhsa_system_sgpr_workgroup_id_z 0
		.amdhsa_system_sgpr_workgroup_info 0
		.amdhsa_system_vgpr_workitem_id 0
		.amdhsa_next_free_vgpr 70
		.amdhsa_next_free_sgpr 30
		.amdhsa_reserve_vcc 1
		.amdhsa_float_round_mode_32 0
		.amdhsa_float_round_mode_16_64 0
		.amdhsa_float_denorm_mode_32 3
		.amdhsa_float_denorm_mode_16_64 3
		.amdhsa_fp16_overflow 0
		.amdhsa_workgroup_processor_mode 1
		.amdhsa_memory_ordered 1
		.amdhsa_forward_progress 0
		.amdhsa_round_robin_scheduling 0
		.amdhsa_exception_fp_ieee_invalid_op 0
		.amdhsa_exception_fp_denorm_src 0
		.amdhsa_exception_fp_ieee_div_zero 0
		.amdhsa_exception_fp_ieee_overflow 0
		.amdhsa_exception_fp_ieee_underflow 0
		.amdhsa_exception_fp_ieee_inexact 0
		.amdhsa_exception_int_div_zero 0
	.end_amdhsa_kernel
	.text
.Lfunc_end0:
	.size	fft_rtc_fwd_len112_factors_4_7_4_wgs_448_tpt_28_dp_op_CI_CI_sbrc_xy_z_unaligned_dirReg, .Lfunc_end0-fft_rtc_fwd_len112_factors_4_7_4_wgs_448_tpt_28_dp_op_CI_CI_sbrc_xy_z_unaligned_dirReg
                                        ; -- End function
	.section	.AMDGPU.csdata,"",@progbits
; Kernel info:
; codeLenInByte = 3484
; NumSgprs: 32
; NumVgprs: 70
; ScratchSize: 0
; MemoryBound: 0
; FloatMode: 240
; IeeeMode: 1
; LDSByteSize: 0 bytes/workgroup (compile time only)
; SGPRBlocks: 3
; VGPRBlocks: 8
; NumSGPRsForWavesPerEU: 32
; NumVGPRsForWavesPerEU: 70
; Occupancy: 14
; WaveLimiterHint : 1
; COMPUTE_PGM_RSRC2:SCRATCH_EN: 0
; COMPUTE_PGM_RSRC2:USER_SGPR: 2
; COMPUTE_PGM_RSRC2:TRAP_HANDLER: 0
; COMPUTE_PGM_RSRC2:TGID_X_EN: 1
; COMPUTE_PGM_RSRC2:TGID_Y_EN: 0
; COMPUTE_PGM_RSRC2:TGID_Z_EN: 0
; COMPUTE_PGM_RSRC2:TIDIG_COMP_CNT: 0
	.text
	.p2alignl 7, 3214868480
	.fill 96, 4, 3214868480
	.type	__hip_cuid_e0789fa2b14d7ff2,@object ; @__hip_cuid_e0789fa2b14d7ff2
	.section	.bss,"aw",@nobits
	.globl	__hip_cuid_e0789fa2b14d7ff2
__hip_cuid_e0789fa2b14d7ff2:
	.byte	0                               ; 0x0
	.size	__hip_cuid_e0789fa2b14d7ff2, 1

	.ident	"AMD clang version 19.0.0git (https://github.com/RadeonOpenCompute/llvm-project roc-6.4.0 25133 c7fe45cf4b819c5991fe208aaa96edf142730f1d)"
	.section	".note.GNU-stack","",@progbits
	.addrsig
	.addrsig_sym __hip_cuid_e0789fa2b14d7ff2
	.amdgpu_metadata
---
amdhsa.kernels:
  - .args:
      - .actual_access:  read_only
        .address_space:  global
        .offset:         0
        .size:           8
        .value_kind:     global_buffer
      - .offset:         8
        .size:           8
        .value_kind:     by_value
      - .actual_access:  read_only
        .address_space:  global
        .offset:         16
        .size:           8
        .value_kind:     global_buffer
      - .actual_access:  read_only
        .address_space:  global
        .offset:         24
        .size:           8
        .value_kind:     global_buffer
      - .actual_access:  read_only
        .address_space:  global
        .offset:         32
        .size:           8
        .value_kind:     global_buffer
      - .offset:         40
        .size:           8
        .value_kind:     by_value
      - .actual_access:  read_only
        .address_space:  global
        .offset:         48
        .size:           8
        .value_kind:     global_buffer
      - .actual_access:  read_only
        .address_space:  global
        .offset:         56
        .size:           8
        .value_kind:     global_buffer
      - .offset:         64
        .size:           4
        .value_kind:     by_value
      - .actual_access:  read_only
        .address_space:  global
        .offset:         72
        .size:           8
        .value_kind:     global_buffer
      - .actual_access:  read_only
        .address_space:  global
        .offset:         80
        .size:           8
        .value_kind:     global_buffer
      - .actual_access:  read_only
        .address_space:  global
        .offset:         88
        .size:           8
        .value_kind:     global_buffer
      - .actual_access:  write_only
        .address_space:  global
        .offset:         96
        .size:           8
        .value_kind:     global_buffer
    .group_segment_fixed_size: 0
    .kernarg_segment_align: 8
    .kernarg_segment_size: 104
    .language:       OpenCL C
    .language_version:
      - 2
      - 0
    .max_flat_workgroup_size: 448
    .name:           fft_rtc_fwd_len112_factors_4_7_4_wgs_448_tpt_28_dp_op_CI_CI_sbrc_xy_z_unaligned_dirReg
    .private_segment_fixed_size: 0
    .sgpr_count:     32
    .sgpr_spill_count: 0
    .symbol:         fft_rtc_fwd_len112_factors_4_7_4_wgs_448_tpt_28_dp_op_CI_CI_sbrc_xy_z_unaligned_dirReg.kd
    .uniform_work_group_size: 1
    .uses_dynamic_stack: false
    .vgpr_count:     70
    .vgpr_spill_count: 0
    .wavefront_size: 32
    .workgroup_processor_mode: 1
amdhsa.target:   amdgcn-amd-amdhsa--gfx1201
amdhsa.version:
  - 1
  - 2
...

	.end_amdgpu_metadata
